;; amdgpu-corpus repo=zjin-lcf/HeCBench kind=compiled arch=gfx906 opt=O3
	.amdgcn_target "amdgcn-amd-amdhsa--gfx906"
	.amdhsa_code_object_version 6
	.text
	.protected	_Z22rotate_matrix_parallelPfi ; -- Begin function _Z22rotate_matrix_parallelPfi
	.globl	_Z22rotate_matrix_parallelPfi
	.p2align	8
	.type	_Z22rotate_matrix_parallelPfi,@function
_Z22rotate_matrix_parallelPfi:          ; @_Z22rotate_matrix_parallelPfi
; %bb.0:
	s_load_dword s0, s[4:5], 0x1c
	s_load_dword s7, s[4:5], 0x8
	s_waitcnt lgkmcnt(0)
	s_and_b32 s0, s0, 0xffff
	s_lshr_b32 s1, s7, 31
	s_mul_i32 s6, s6, s0
	s_add_i32 s0, s7, s1
	v_add_u32_e32 v9, s6, v0
	s_ashr_i32 s0, s0, 1
	v_cmp_gt_i32_e32 vcc, s0, v9
	s_and_saveexec_b64 s[0:1], vcc
	s_cbranch_execz .LBB0_4
; %bb.1:
	v_xad_u32 v10, v9, -1, s7
	v_cmp_lt_i32_e32 vcc, v9, v10
	s_and_b64 exec, exec, vcc
	s_cbranch_execz .LBB0_4
; %bb.2:
	v_mul_lo_u32 v2, v9, s7
	s_load_dwordx2 s[0:1], s[4:5], 0x0
	s_add_i32 s2, s7, -1
	v_sub_u32_e32 v6, s7, v9
	v_add3_u32 v2, v0, v2, s6
	v_mul_lo_u32 v1, v9, s2
	v_mul_lo_u32 v5, v10, s7
	v_ashrrev_i32_e32 v3, 31, v2
	v_mul_lo_u32 v6, s7, v6
	v_lshlrev_b64 v[3:4], 2, v[2:3]
	s_waitcnt lgkmcnt(0)
	v_mov_b32_e32 v2, s1
	v_add_co_u32_e32 v3, vcc, s0, v3
	v_add_u32_e32 v1, s2, v1
	v_addc_co_u32_e32 v4, vcc, v2, v4, vcc
	v_add3_u32 v5, v0, v5, s6
	v_xad_u32 v7, v9, -1, v6
	s_mov_b64 s[2:3], 0
	v_mov_b32_e32 v0, s1
.LBB0_3:                                ; =>This Inner Loop Header: Depth=1
	v_ashrrev_i32_e32 v6, 31, v5
	v_lshlrev_b64 v[11:12], 2, v[5:6]
	v_ashrrev_i32_e32 v8, 31, v7
	v_add_co_u32_e32 v11, vcc, s0, v11
	v_addc_co_u32_e32 v12, vcc, v0, v12, vcc
	global_load_dword v6, v[11:12], off
	v_lshlrev_b64 v[13:14], 2, v[7:8]
	v_ashrrev_i32_e32 v2, 31, v1
	v_add_co_u32_e32 v13, vcc, s0, v13
	v_lshlrev_b64 v[15:16], 2, v[1:2]
	v_addc_co_u32_e32 v14, vcc, v0, v14, vcc
	global_load_dword v2, v[3:4], off
	v_add_co_u32_e32 v15, vcc, s0, v15
	v_addc_co_u32_e32 v16, vcc, v0, v16, vcc
	v_add_u32_e32 v9, 1, v9
	v_cmp_ge_i32_e32 vcc, v9, v10
	s_or_b64 s[2:3], vcc, s[2:3]
	v_add_u32_e32 v1, s7, v1
	v_subrev_u32_e32 v5, s7, v5
	v_add_u32_e32 v7, -1, v7
	s_waitcnt vmcnt(1)
	global_store_dword v[3:4], v6, off
	global_load_dword v6, v[13:14], off
	v_add_co_u32_e32 v3, vcc, 4, v3
	v_addc_co_u32_e32 v4, vcc, 0, v4, vcc
	s_waitcnt vmcnt(0)
	global_store_dword v[11:12], v6, off
	global_load_dword v6, v[15:16], off
	s_waitcnt vmcnt(0)
	global_store_dword v[13:14], v6, off
	global_store_dword v[15:16], v2, off
	s_andn2_b64 exec, exec, s[2:3]
	s_cbranch_execnz .LBB0_3
.LBB0_4:
	s_endpgm
	.section	.rodata,"a",@progbits
	.p2align	6, 0x0
	.amdhsa_kernel _Z22rotate_matrix_parallelPfi
		.amdhsa_group_segment_fixed_size 0
		.amdhsa_private_segment_fixed_size 0
		.amdhsa_kernarg_size 272
		.amdhsa_user_sgpr_count 6
		.amdhsa_user_sgpr_private_segment_buffer 1
		.amdhsa_user_sgpr_dispatch_ptr 0
		.amdhsa_user_sgpr_queue_ptr 0
		.amdhsa_user_sgpr_kernarg_segment_ptr 1
		.amdhsa_user_sgpr_dispatch_id 0
		.amdhsa_user_sgpr_flat_scratch_init 0
		.amdhsa_user_sgpr_private_segment_size 0
		.amdhsa_uses_dynamic_stack 0
		.amdhsa_system_sgpr_private_segment_wavefront_offset 0
		.amdhsa_system_sgpr_workgroup_id_x 1
		.amdhsa_system_sgpr_workgroup_id_y 0
		.amdhsa_system_sgpr_workgroup_id_z 0
		.amdhsa_system_sgpr_workgroup_info 0
		.amdhsa_system_vgpr_workitem_id 0
		.amdhsa_next_free_vgpr 17
		.amdhsa_next_free_sgpr 8
		.amdhsa_reserve_vcc 1
		.amdhsa_reserve_flat_scratch 0
		.amdhsa_float_round_mode_32 0
		.amdhsa_float_round_mode_16_64 0
		.amdhsa_float_denorm_mode_32 3
		.amdhsa_float_denorm_mode_16_64 3
		.amdhsa_dx10_clamp 1
		.amdhsa_ieee_mode 1
		.amdhsa_fp16_overflow 0
		.amdhsa_exception_fp_ieee_invalid_op 0
		.amdhsa_exception_fp_denorm_src 0
		.amdhsa_exception_fp_ieee_div_zero 0
		.amdhsa_exception_fp_ieee_overflow 0
		.amdhsa_exception_fp_ieee_underflow 0
		.amdhsa_exception_fp_ieee_inexact 0
		.amdhsa_exception_int_div_zero 0
	.end_amdhsa_kernel
	.text
.Lfunc_end0:
	.size	_Z22rotate_matrix_parallelPfi, .Lfunc_end0-_Z22rotate_matrix_parallelPfi
                                        ; -- End function
	.set _Z22rotate_matrix_parallelPfi.num_vgpr, 17
	.set _Z22rotate_matrix_parallelPfi.num_agpr, 0
	.set _Z22rotate_matrix_parallelPfi.numbered_sgpr, 8
	.set _Z22rotate_matrix_parallelPfi.num_named_barrier, 0
	.set _Z22rotate_matrix_parallelPfi.private_seg_size, 0
	.set _Z22rotate_matrix_parallelPfi.uses_vcc, 1
	.set _Z22rotate_matrix_parallelPfi.uses_flat_scratch, 0
	.set _Z22rotate_matrix_parallelPfi.has_dyn_sized_stack, 0
	.set _Z22rotate_matrix_parallelPfi.has_recursion, 0
	.set _Z22rotate_matrix_parallelPfi.has_indirect_call, 0
	.section	.AMDGPU.csdata,"",@progbits
; Kernel info:
; codeLenInByte = 372
; TotalNumSgprs: 12
; NumVgprs: 17
; ScratchSize: 0
; MemoryBound: 0
; FloatMode: 240
; IeeeMode: 1
; LDSByteSize: 0 bytes/workgroup (compile time only)
; SGPRBlocks: 1
; VGPRBlocks: 4
; NumSGPRsForWavesPerEU: 12
; NumVGPRsForWavesPerEU: 17
; Occupancy: 10
; WaveLimiterHint : 0
; COMPUTE_PGM_RSRC2:SCRATCH_EN: 0
; COMPUTE_PGM_RSRC2:USER_SGPR: 6
; COMPUTE_PGM_RSRC2:TRAP_HANDLER: 0
; COMPUTE_PGM_RSRC2:TGID_X_EN: 1
; COMPUTE_PGM_RSRC2:TGID_Y_EN: 0
; COMPUTE_PGM_RSRC2:TGID_Z_EN: 0
; COMPUTE_PGM_RSRC2:TIDIG_COMP_CNT: 0
	.section	.AMDGPU.gpr_maximums,"",@progbits
	.set amdgpu.max_num_vgpr, 0
	.set amdgpu.max_num_agpr, 0
	.set amdgpu.max_num_sgpr, 0
	.section	.AMDGPU.csdata,"",@progbits
	.type	__hip_cuid_30596d93132f9bd7,@object ; @__hip_cuid_30596d93132f9bd7
	.section	.bss,"aw",@nobits
	.globl	__hip_cuid_30596d93132f9bd7
__hip_cuid_30596d93132f9bd7:
	.byte	0                               ; 0x0
	.size	__hip_cuid_30596d93132f9bd7, 1

	.ident	"AMD clang version 22.0.0git (https://github.com/RadeonOpenCompute/llvm-project roc-7.2.4 26084 f58b06dce1f9c15707c5f808fd002e18c2accf7e)"
	.section	".note.GNU-stack","",@progbits
	.addrsig
	.addrsig_sym __hip_cuid_30596d93132f9bd7
	.amdgpu_metadata
---
amdhsa.kernels:
  - .args:
      - .address_space:  global
        .offset:         0
        .size:           8
        .value_kind:     global_buffer
      - .offset:         8
        .size:           4
        .value_kind:     by_value
      - .offset:         16
        .size:           4
        .value_kind:     hidden_block_count_x
      - .offset:         20
        .size:           4
        .value_kind:     hidden_block_count_y
      - .offset:         24
        .size:           4
        .value_kind:     hidden_block_count_z
      - .offset:         28
        .size:           2
        .value_kind:     hidden_group_size_x
      - .offset:         30
        .size:           2
        .value_kind:     hidden_group_size_y
      - .offset:         32
        .size:           2
        .value_kind:     hidden_group_size_z
      - .offset:         34
        .size:           2
        .value_kind:     hidden_remainder_x
      - .offset:         36
        .size:           2
        .value_kind:     hidden_remainder_y
      - .offset:         38
        .size:           2
        .value_kind:     hidden_remainder_z
      - .offset:         56
        .size:           8
        .value_kind:     hidden_global_offset_x
      - .offset:         64
        .size:           8
        .value_kind:     hidden_global_offset_y
      - .offset:         72
        .size:           8
        .value_kind:     hidden_global_offset_z
      - .offset:         80
        .size:           2
        .value_kind:     hidden_grid_dims
    .group_segment_fixed_size: 0
    .kernarg_segment_align: 8
    .kernarg_segment_size: 272
    .language:       OpenCL C
    .language_version:
      - 2
      - 0
    .max_flat_workgroup_size: 1024
    .name:           _Z22rotate_matrix_parallelPfi
    .private_segment_fixed_size: 0
    .sgpr_count:     12
    .sgpr_spill_count: 0
    .symbol:         _Z22rotate_matrix_parallelPfi.kd
    .uniform_work_group_size: 1
    .uses_dynamic_stack: false
    .vgpr_count:     17
    .vgpr_spill_count: 0
    .wavefront_size: 64
amdhsa.target:   amdgcn-amd-amdhsa--gfx906
amdhsa.version:
  - 1
  - 2
...

	.end_amdgpu_metadata
